;; amdgpu-corpus repo=ROCm/rocFFT kind=compiled arch=gfx1201 opt=O3
	.text
	.amdgcn_target "amdgcn-amd-amdhsa--gfx1201"
	.amdhsa_code_object_version 6
	.protected	fft_rtc_back_len240_factors_8_5_6_wgs_384_tpt_48_sp_op_CI_CI_sbcc_twdbase8_3step_dirReg_intrinsicReadWrite ; -- Begin function fft_rtc_back_len240_factors_8_5_6_wgs_384_tpt_48_sp_op_CI_CI_sbcc_twdbase8_3step_dirReg_intrinsicReadWrite
	.globl	fft_rtc_back_len240_factors_8_5_6_wgs_384_tpt_48_sp_op_CI_CI_sbcc_twdbase8_3step_dirReg_intrinsicReadWrite
	.p2align	8
	.type	fft_rtc_back_len240_factors_8_5_6_wgs_384_tpt_48_sp_op_CI_CI_sbcc_twdbase8_3step_dirReg_intrinsicReadWrite,@function
fft_rtc_back_len240_factors_8_5_6_wgs_384_tpt_48_sp_op_CI_CI_sbcc_twdbase8_3step_dirReg_intrinsicReadWrite: ; @fft_rtc_back_len240_factors_8_5_6_wgs_384_tpt_48_sp_op_CI_CI_sbcc_twdbase8_3step_dirReg_intrinsicReadWrite
; %bb.0:
	s_clause 0x1
	s_load_b128 s[20:23], s[0:1], 0x18
	s_load_b64 s[28:29], s[0:1], 0x28
	s_mov_b32 s36, ttmp9
	s_mov_b32 s37, 0
	s_mov_b64 s[24:25], 0
	s_wait_kmcnt 0x0
	s_load_b64 s[30:31], s[20:21], 0x8
	s_wait_kmcnt 0x0
	s_add_nc_u64 s[2:3], s[30:31], -1
	s_delay_alu instid0(SALU_CYCLE_1) | instskip(NEXT) | instid1(SALU_CYCLE_1)
	s_lshr_b64 s[2:3], s[2:3], 3
	s_add_nc_u64 s[34:35], s[2:3], 1
	s_delay_alu instid0(SALU_CYCLE_1) | instskip(NEXT) | instid1(VALU_DEP_1)
	v_cmp_lt_u64_e64 s2, s[36:37], s[34:35]
	s_and_b32 vcc_lo, exec_lo, s2
	s_cbranch_vccnz .LBB0_2
; %bb.1:
	v_cvt_f32_u32_e32 v1, s34
	s_sub_co_i32 s3, 0, s34
	s_mov_b32 s25, s37
	s_delay_alu instid0(VALU_DEP_1) | instskip(NEXT) | instid1(TRANS32_DEP_1)
	v_rcp_iflag_f32_e32 v1, v1
	v_mul_f32_e32 v1, 0x4f7ffffe, v1
	s_delay_alu instid0(VALU_DEP_1) | instskip(NEXT) | instid1(VALU_DEP_1)
	v_cvt_u32_f32_e32 v1, v1
	v_readfirstlane_b32 s2, v1
	s_delay_alu instid0(VALU_DEP_1) | instskip(NEXT) | instid1(SALU_CYCLE_1)
	s_mul_i32 s3, s3, s2
	s_mul_hi_u32 s3, s2, s3
	s_delay_alu instid0(SALU_CYCLE_1) | instskip(NEXT) | instid1(SALU_CYCLE_1)
	s_add_co_i32 s2, s2, s3
	s_mul_hi_u32 s2, s36, s2
	s_delay_alu instid0(SALU_CYCLE_1) | instskip(SKIP_2) | instid1(SALU_CYCLE_1)
	s_mul_i32 s3, s2, s34
	s_add_co_i32 s4, s2, 1
	s_sub_co_i32 s3, s36, s3
	s_sub_co_i32 s5, s3, s34
	s_cmp_ge_u32 s3, s34
	s_cselect_b32 s2, s4, s2
	s_cselect_b32 s3, s5, s3
	s_add_co_i32 s4, s2, 1
	s_cmp_ge_u32 s3, s34
	s_cselect_b32 s24, s4, s2
.LBB0_2:
	s_load_b128 s[12:15], s[0:1], 0x8
	s_load_b128 s[16:19], s[22:23], 0x0
	;; [unrolled: 1-line block ×3, first 2 shown]
	s_clause 0x1
	s_load_b64 s[26:27], s[0:1], 0x0
	s_load_b128 s[4:7], s[0:1], 0x60
	s_mul_u64 s[0:1], s[24:25], s[34:35]
	s_delay_alu instid0(SALU_CYCLE_1) | instskip(NEXT) | instid1(SALU_CYCLE_1)
	s_sub_nc_u64 s[0:1], s[36:37], s[0:1]
	s_lshl_b64 s[0:1], s[0:1], 3
	s_wait_kmcnt 0x0
	v_cmp_lt_u64_e64 s2, s[14:15], 3
	s_mul_u64 s[38:39], s[18:19], s[0:1]
	s_delay_alu instid0(VALU_DEP_1)
	s_and_b32 vcc_lo, exec_lo, s2
	s_mul_u64 s[2:3], s[10:11], s[0:1]
	s_cbranch_vccnz .LBB0_12
; %bb.3:
	s_add_nc_u64 s[40:41], s[28:29], 16
	s_add_nc_u64 s[42:43], s[22:23], 16
	;; [unrolled: 1-line block ×3, first 2 shown]
	s_mov_b64 s[44:45], 2
	s_mov_b32 s46, 0
.LBB0_4:                                ; =>This Inner Loop Header: Depth=1
	s_load_b64 s[48:49], s[20:21], 0x0
                                        ; implicit-def: $sgpr52_sgpr53
	s_wait_kmcnt 0x0
	s_or_b64 s[50:51], s[24:25], s[48:49]
	s_delay_alu instid0(SALU_CYCLE_1)
	s_mov_b32 s47, s51
	s_mov_b32 s51, -1
	s_cmp_lg_u64 s[46:47], 0
	s_cbranch_scc0 .LBB0_6
; %bb.5:                                ;   in Loop: Header=BB0_4 Depth=1
	s_cvt_f32_u32 s9, s48
	s_cvt_f32_u32 s11, s49
	s_sub_nc_u64 s[54:55], 0, s[48:49]
	s_mov_b32 s51, 0
	s_mov_b32 s59, s46
	s_wait_alu 0xfffe
	s_fmamk_f32 s9, s11, 0x4f800000, s9
	s_wait_alu 0xfffe
	s_delay_alu instid0(SALU_CYCLE_2) | instskip(NEXT) | instid1(TRANS32_DEP_1)
	v_s_rcp_f32 s9, s9
	s_mul_f32 s9, s9, 0x5f7ffffc
	s_wait_alu 0xfffe
	s_delay_alu instid0(SALU_CYCLE_2) | instskip(NEXT) | instid1(SALU_CYCLE_3)
	s_mul_f32 s11, s9, 0x2f800000
	s_trunc_f32 s11, s11
	s_delay_alu instid0(SALU_CYCLE_3) | instskip(SKIP_2) | instid1(SALU_CYCLE_1)
	s_fmamk_f32 s9, s11, 0xcf800000, s9
	s_cvt_u32_f32 s53, s11
	s_wait_alu 0xfffe
	s_cvt_u32_f32 s52, s9
	s_wait_alu 0xfffe
	s_delay_alu instid0(SALU_CYCLE_2)
	s_mul_u64 s[56:57], s[54:55], s[52:53]
	s_wait_alu 0xfffe
	s_mul_hi_u32 s61, s52, s57
	s_mul_i32 s60, s52, s57
	s_mul_hi_u32 s50, s52, s56
	s_mul_i32 s11, s53, s56
	s_add_nc_u64 s[60:61], s[50:51], s[60:61]
	s_mul_hi_u32 s9, s53, s56
	s_mul_hi_u32 s17, s53, s57
	s_add_co_u32 s11, s60, s11
	s_wait_alu 0xfffe
	s_add_co_ci_u32 s58, s61, s9
	s_mul_i32 s56, s53, s57
	s_add_co_ci_u32 s57, s17, 0
	s_wait_alu 0xfffe
	s_add_nc_u64 s[56:57], s[58:59], s[56:57]
	s_wait_alu 0xfffe
	v_add_co_u32 v1, s9, s52, s56
	s_delay_alu instid0(VALU_DEP_1) | instskip(SKIP_1) | instid1(VALU_DEP_1)
	s_cmp_lg_u32 s9, 0
	s_add_co_ci_u32 s53, s53, s57
	v_readfirstlane_b32 s52, v1
	s_mov_b32 s57, s46
	s_wait_alu 0xfffe
	s_delay_alu instid0(VALU_DEP_1)
	s_mul_u64 s[54:55], s[54:55], s[52:53]
	s_wait_alu 0xfffe
	s_mul_hi_u32 s59, s52, s55
	s_mul_i32 s58, s52, s55
	s_mul_hi_u32 s50, s52, s54
	s_mul_i32 s11, s53, s54
	s_add_nc_u64 s[58:59], s[50:51], s[58:59]
	s_mul_hi_u32 s9, s53, s54
	s_mul_hi_u32 s17, s53, s55
	s_add_co_u32 s11, s58, s11
	s_wait_alu 0xfffe
	s_add_co_ci_u32 s56, s59, s9
	s_mul_i32 s54, s53, s55
	s_add_co_ci_u32 s55, s17, 0
	s_wait_alu 0xfffe
	s_add_nc_u64 s[54:55], s[56:57], s[54:55]
	s_wait_alu 0xfffe
	v_add_co_u32 v1, s9, v1, s54
	s_delay_alu instid0(VALU_DEP_1) | instskip(SKIP_1) | instid1(VALU_DEP_1)
	s_cmp_lg_u32 s9, 0
	s_add_co_ci_u32 s9, s53, s55
	v_readfirstlane_b32 s11, v1
	s_wait_alu 0xfffe
	s_mul_hi_u32 s53, s24, s9
	s_mul_i32 s52, s24, s9
	s_mul_hi_u32 s17, s25, s9
	s_mul_i32 s54, s25, s9
	;; [unrolled: 2-line block ×3, first 2 shown]
	s_wait_alu 0xfffe
	s_add_nc_u64 s[52:53], s[50:51], s[52:53]
	s_mul_hi_u32 s11, s25, s11
	s_wait_alu 0xfffe
	s_add_co_u32 s9, s52, s9
	s_add_co_ci_u32 s56, s53, s11
	s_add_co_ci_u32 s55, s17, 0
	s_wait_alu 0xfffe
	s_add_nc_u64 s[52:53], s[56:57], s[54:55]
	s_wait_alu 0xfffe
	s_mul_u64 s[54:55], s[48:49], s[52:53]
	s_add_nc_u64 s[56:57], s[52:53], 1
	s_wait_alu 0xfffe
	v_sub_co_u32 v1, s9, s24, s54
	s_sub_co_i32 s11, s25, s55
	s_cmp_lg_u32 s9, 0
	s_add_nc_u64 s[58:59], s[52:53], 2
	s_delay_alu instid0(VALU_DEP_1) | instskip(SKIP_2) | instid1(VALU_DEP_1)
	v_sub_co_u32 v2, s17, v1, s48
	s_sub_co_ci_u32 s11, s11, s49
	s_cmp_lg_u32 s17, 0
	v_readfirstlane_b32 s17, v2
	s_sub_co_ci_u32 s11, s11, 0
	s_delay_alu instid0(SALU_CYCLE_1) | instskip(SKIP_1) | instid1(VALU_DEP_1)
	s_cmp_ge_u32 s11, s49
	s_cselect_b32 s33, -1, 0
	s_cmp_ge_u32 s17, s48
	s_cselect_b32 s17, -1, 0
	s_cmp_eq_u32 s11, s49
	s_cselect_b32 s11, s17, s33
	s_delay_alu instid0(SALU_CYCLE_1)
	s_cmp_lg_u32 s11, 0
	s_cselect_b32 s11, s58, s56
	s_cselect_b32 s17, s59, s57
	s_cmp_lg_u32 s9, 0
	v_readfirstlane_b32 s9, v1
	s_sub_co_ci_u32 s33, s25, s55
	s_delay_alu instid0(SALU_CYCLE_1) | instskip(SKIP_1) | instid1(VALU_DEP_1)
	s_cmp_ge_u32 s33, s49
	s_cselect_b32 s47, -1, 0
	s_cmp_ge_u32 s9, s48
	s_cselect_b32 s9, -1, 0
	s_cmp_eq_u32 s33, s49
	s_wait_alu 0xfffe
	s_cselect_b32 s9, s9, s47
	s_wait_alu 0xfffe
	s_cmp_lg_u32 s9, 0
	s_cselect_b32 s53, s17, s53
	s_cselect_b32 s52, s11, s52
.LBB0_6:                                ;   in Loop: Header=BB0_4 Depth=1
	s_and_not1_b32 vcc_lo, exec_lo, s51
	s_cbranch_vccnz .LBB0_8
; %bb.7:                                ;   in Loop: Header=BB0_4 Depth=1
	v_cvt_f32_u32_e32 v1, s48
	s_sub_co_i32 s11, 0, s48
	s_mov_b32 s53, s46
	s_delay_alu instid0(VALU_DEP_1) | instskip(NEXT) | instid1(TRANS32_DEP_1)
	v_rcp_iflag_f32_e32 v1, v1
	v_mul_f32_e32 v1, 0x4f7ffffe, v1
	s_delay_alu instid0(VALU_DEP_1) | instskip(NEXT) | instid1(VALU_DEP_1)
	v_cvt_u32_f32_e32 v1, v1
	v_readfirstlane_b32 s9, v1
	s_delay_alu instid0(VALU_DEP_1) | instskip(NEXT) | instid1(SALU_CYCLE_1)
	s_mul_i32 s11, s11, s9
	s_mul_hi_u32 s11, s9, s11
	s_delay_alu instid0(SALU_CYCLE_1)
	s_add_co_i32 s9, s9, s11
	s_wait_alu 0xfffe
	s_mul_hi_u32 s9, s24, s9
	s_wait_alu 0xfffe
	s_mul_i32 s11, s9, s48
	s_add_co_i32 s17, s9, 1
	s_sub_co_i32 s11, s24, s11
	s_delay_alu instid0(SALU_CYCLE_1)
	s_sub_co_i32 s33, s11, s48
	s_cmp_ge_u32 s11, s48
	s_cselect_b32 s9, s17, s9
	s_cselect_b32 s11, s33, s11
	s_wait_alu 0xfffe
	s_add_co_i32 s17, s9, 1
	s_cmp_ge_u32 s11, s48
	s_cselect_b32 s52, s17, s9
.LBB0_8:                                ;   in Loop: Header=BB0_4 Depth=1
	s_load_b64 s[50:51], s[42:43], 0x0
	s_load_b64 s[54:55], s[40:41], 0x0
	s_add_nc_u64 s[44:45], s[44:45], 1
	s_mul_u64 s[34:35], s[48:49], s[34:35]
	s_wait_alu 0xfffe
	v_cmp_ge_u64_e64 s9, s[44:45], s[14:15]
	s_mul_u64 s[48:49], s[52:53], s[48:49]
	s_add_nc_u64 s[40:41], s[40:41], 8
	s_wait_alu 0xfffe
	s_sub_nc_u64 s[24:25], s[24:25], s[48:49]
	s_add_nc_u64 s[42:43], s[42:43], 8
	s_add_nc_u64 s[20:21], s[20:21], 8
	s_and_b32 vcc_lo, exec_lo, s9
	s_wait_kmcnt 0x0
	s_wait_alu 0xfffe
	s_mul_u64 s[48:49], s[50:51], s[24:25]
	s_mul_u64 s[24:25], s[54:55], s[24:25]
	s_wait_alu 0xfffe
	s_add_nc_u64 s[38:39], s[48:49], s[38:39]
	s_add_nc_u64 s[2:3], s[24:25], s[2:3]
	s_cbranch_vccnz .LBB0_10
; %bb.9:                                ;   in Loop: Header=BB0_4 Depth=1
	s_mov_b64 s[24:25], s[52:53]
	s_branch .LBB0_4
.LBB0_10:
	v_cmp_lt_u64_e64 s3, s[36:37], s[34:35]
	s_mov_b64 s[24:25], 0
	s_delay_alu instid0(VALU_DEP_1)
	s_and_b32 vcc_lo, exec_lo, s3
	s_cbranch_vccnz .LBB0_12
; %bb.11:
	v_cvt_f32_u32_e32 v1, s34
	s_sub_co_i32 s9, 0, s34
	s_mov_b32 s25, 0
	s_delay_alu instid0(VALU_DEP_1) | instskip(NEXT) | instid1(TRANS32_DEP_1)
	v_rcp_iflag_f32_e32 v1, v1
	v_mul_f32_e32 v1, 0x4f7ffffe, v1
	s_delay_alu instid0(VALU_DEP_1) | instskip(NEXT) | instid1(VALU_DEP_1)
	v_cvt_u32_f32_e32 v1, v1
	v_readfirstlane_b32 s3, v1
	s_wait_alu 0xfffe
	s_delay_alu instid0(VALU_DEP_1) | instskip(SKIP_4) | instid1(SALU_CYCLE_1)
	s_mul_i32 s9, s9, s3
	s_wait_alu 0xfffe
	s_mul_hi_u32 s9, s3, s9
	s_wait_alu 0xfffe
	s_add_co_i32 s3, s3, s9
	s_mul_hi_u32 s3, s36, s3
	s_delay_alu instid0(SALU_CYCLE_1)
	s_mul_i32 s9, s3, s34
	s_add_co_i32 s11, s3, 1
	s_wait_alu 0xfffe
	s_sub_co_i32 s9, s36, s9
	s_wait_alu 0xfffe
	s_sub_co_i32 s17, s9, s34
	s_cmp_ge_u32 s9, s34
	s_cselect_b32 s3, s11, s3
	s_cselect_b32 s9, s17, s9
	s_add_co_i32 s11, s3, 1
	s_wait_alu 0xfffe
	s_cmp_ge_u32 s9, s34
	s_cselect_b32 s24, s11, s3
.LBB0_12:
	s_lshl_b64 s[14:15], s[14:15], 3
	v_cmp_lt_u32_e32 vcc_lo, 0xef, v0
	s_wait_alu 0xfffe
	s_add_nc_u64 s[20:21], s[22:23], s[14:15]
	s_add_nc_u64 s[22:23], s[0:1], 8
	v_mov_b32_e32 v14, s1
	v_cmp_le_u64_e64 s3, s[22:23], s[30:31]
	s_load_b64 s[20:21], s[20:21], 0x0
	v_lshrrev_b32_e32 v21, 3, v0
	v_mov_b32_e32 v6, 0
	s_delay_alu instid0(VALU_DEP_3) | instskip(SKIP_1) | instid1(VALU_DEP_1)
	s_or_b32 vcc_lo, vcc_lo, s3
	v_and_b32_e32 v20, 7, v0
	v_or_b32_e32 v13, s0, v20
	v_cmp_gt_u32_e64 s0, 0xf0, v0
	s_wait_alu 0xf1ff
	s_delay_alu instid0(VALU_DEP_1) | instskip(NEXT) | instid1(VALU_DEP_3)
	v_cndmask_b32_e64 v1, 0, 1, s0
	v_cmp_gt_u64_e64 s0, s[30:31], v[13:14]
	s_wait_alu 0xf1ff
	s_delay_alu instid0(VALU_DEP_1) | instskip(SKIP_2) | instid1(VALU_DEP_1)
	v_cndmask_b32_e64 v22, 0, 1, s0
	s_wait_kmcnt 0x0
	s_mul_u64 s[0:1], s[20:21], s[24:25]
	v_cndmask_b32_e32 v5, v22, v1, vcc_lo
	v_mad_co_u64_u32 v[3:4], null, s18, v20, 0
	s_delay_alu instid0(VALU_DEP_2) | instskip(NEXT) | instid1(VALU_DEP_2)
	v_dual_mov_b32 v2, 0 :: v_dual_and_b32 v7, 1, v5
	v_mov_b32_e32 v1, v4
	s_delay_alu instid0(VALU_DEP_2) | instskip(NEXT) | instid1(VALU_DEP_2)
	v_cmp_eq_u32_e32 vcc_lo, 1, v7
	v_mad_co_u64_u32 v[4:5], null, s19, v20, v[1:2]
	v_mov_b32_e32 v5, 0
	s_wait_alu 0xfffe
	s_add_nc_u64 s[18:19], s[0:1], s[38:39]
	s_and_saveexec_b32 s1, vcc_lo
	s_cbranch_execz .LBB0_14
; %bb.13:
	v_mul_lo_u32 v1, s16, v21
	s_wait_alu 0xfffe
	s_delay_alu instid0(VALU_DEP_1) | instskip(NEXT) | instid1(VALU_DEP_1)
	v_add3_u32 v1, s18, v3, v1
	v_lshlrev_b64_e32 v[4:5], 3, v[1:2]
	s_delay_alu instid0(VALU_DEP_1) | instskip(SKIP_1) | instid1(VALU_DEP_2)
	v_add_co_u32 v4, s0, s4, v4
	s_wait_alu 0xf1ff
	v_add_co_ci_u32_e64 v5, s0, s5, v5, s0
	global_load_b64 v[5:6], v[4:5], off
.LBB0_14:
	s_wait_alu 0xfffe
	s_or_b32 exec_lo, exec_lo, s1
	v_mov_b32_e32 v1, 0
	s_and_saveexec_b32 s1, vcc_lo
	s_cbranch_execz .LBB0_16
; %bb.15:
	v_dual_mov_b32 v2, 0 :: v_dual_add_nc_u32 v1, 30, v21
	s_delay_alu instid0(VALU_DEP_1) | instskip(NEXT) | instid1(VALU_DEP_1)
	v_mul_lo_u32 v1, s16, v1
	v_add3_u32 v1, s18, v3, v1
	s_delay_alu instid0(VALU_DEP_1) | instskip(NEXT) | instid1(VALU_DEP_1)
	v_lshlrev_b64_e32 v[1:2], 3, v[1:2]
	v_add_co_u32 v1, s0, s4, v1
	s_wait_alu 0xf1ff
	s_delay_alu instid0(VALU_DEP_2)
	v_add_co_ci_u32_e64 v2, s0, s5, v2, s0
	global_load_b64 v[1:2], v[1:2], off
.LBB0_16:
	s_wait_alu 0xfffe
	s_or_b32 exec_lo, exec_lo, s1
	v_dual_mov_b32 v10, 0 :: v_dual_mov_b32 v7, 0
	v_mov_b32_e32 v8, 0
	s_and_saveexec_b32 s1, vcc_lo
	s_cbranch_execz .LBB0_18
; %bb.17:
	v_add_nc_u32_e32 v4, 60, v21
	v_mov_b32_e32 v8, 0
	s_delay_alu instid0(VALU_DEP_2) | instskip(NEXT) | instid1(VALU_DEP_1)
	v_mul_lo_u32 v4, s16, v4
	v_add3_u32 v7, s18, v3, v4
	s_delay_alu instid0(VALU_DEP_1) | instskip(NEXT) | instid1(VALU_DEP_1)
	v_lshlrev_b64_e32 v[7:8], 3, v[7:8]
	v_add_co_u32 v7, s0, s4, v7
	s_wait_alu 0xf1ff
	s_delay_alu instid0(VALU_DEP_2)
	v_add_co_ci_u32_e64 v8, s0, s5, v8, s0
	global_load_b64 v[7:8], v[7:8], off
.LBB0_18:
	s_wait_alu 0xfffe
	s_or_b32 exec_lo, exec_lo, s1
	v_mov_b32_e32 v9, 0
	s_and_saveexec_b32 s1, vcc_lo
	s_cbranch_execz .LBB0_20
; %bb.19:
	v_add_nc_u32_e32 v4, 0x5a, v21
	v_mov_b32_e32 v10, 0
	s_delay_alu instid0(VALU_DEP_2) | instskip(NEXT) | instid1(VALU_DEP_1)
	v_mul_lo_u32 v4, s16, v4
	v_add3_u32 v9, s18, v3, v4
	s_delay_alu instid0(VALU_DEP_1) | instskip(NEXT) | instid1(VALU_DEP_1)
	v_lshlrev_b64_e32 v[9:10], 3, v[9:10]
	v_add_co_u32 v9, s0, s4, v9
	s_wait_alu 0xf1ff
	s_delay_alu instid0(VALU_DEP_2)
	v_add_co_ci_u32_e64 v10, s0, s5, v10, s0
	global_load_b64 v[9:10], v[9:10], off
.LBB0_20:
	s_wait_alu 0xfffe
	s_or_b32 exec_lo, exec_lo, s1
	v_dual_mov_b32 v12, 0 :: v_dual_mov_b32 v15, 0
	v_mov_b32_e32 v14, 0
	s_and_saveexec_b32 s1, vcc_lo
	s_cbranch_execz .LBB0_22
; %bb.21:
	v_dual_mov_b32 v15, 0 :: v_dual_add_nc_u32 v4, 0x78, v21
	s_delay_alu instid0(VALU_DEP_1) | instskip(NEXT) | instid1(VALU_DEP_1)
	v_mul_lo_u32 v4, s16, v4
	v_add3_u32 v14, s18, v3, v4
	s_delay_alu instid0(VALU_DEP_1) | instskip(NEXT) | instid1(VALU_DEP_1)
	v_lshlrev_b64_e32 v[14:15], 3, v[14:15]
	v_add_co_u32 v14, s0, s4, v14
	s_wait_alu 0xf1ff
	s_delay_alu instid0(VALU_DEP_2)
	v_add_co_ci_u32_e64 v15, s0, s5, v15, s0
	global_load_b64 v[14:15], v[14:15], off
.LBB0_22:
	s_wait_alu 0xfffe
	s_or_b32 exec_lo, exec_lo, s1
	v_mov_b32_e32 v11, 0
	s_and_saveexec_b32 s1, vcc_lo
	s_cbranch_execz .LBB0_24
; %bb.23:
	v_add_nc_u32_e32 v4, 0x96, v21
	v_mov_b32_e32 v12, 0
	s_delay_alu instid0(VALU_DEP_2) | instskip(NEXT) | instid1(VALU_DEP_1)
	v_mul_lo_u32 v4, s16, v4
	v_add3_u32 v11, s18, v3, v4
	s_delay_alu instid0(VALU_DEP_1) | instskip(NEXT) | instid1(VALU_DEP_1)
	v_lshlrev_b64_e32 v[11:12], 3, v[11:12]
	v_add_co_u32 v11, s0, s4, v11
	s_wait_alu 0xf1ff
	s_delay_alu instid0(VALU_DEP_2)
	v_add_co_ci_u32_e64 v12, s0, s5, v12, s0
	global_load_b64 v[11:12], v[11:12], off
.LBB0_24:
	s_wait_alu 0xfffe
	s_or_b32 exec_lo, exec_lo, s1
	v_dual_mov_b32 v17, 0 :: v_dual_mov_b32 v18, 0
	v_mov_b32_e32 v19, 0
	s_and_saveexec_b32 s1, vcc_lo
	s_cbranch_execz .LBB0_26
; %bb.25:
	v_dual_mov_b32 v19, 0 :: v_dual_add_nc_u32 v4, 0xb4, v21
	s_delay_alu instid0(VALU_DEP_1) | instskip(NEXT) | instid1(VALU_DEP_1)
	v_mul_lo_u32 v4, s16, v4
	v_add3_u32 v18, s18, v3, v4
	s_delay_alu instid0(VALU_DEP_1) | instskip(NEXT) | instid1(VALU_DEP_1)
	v_lshlrev_b64_e32 v[18:19], 3, v[18:19]
	v_add_co_u32 v18, s0, s4, v18
	s_wait_alu 0xf1ff
	s_delay_alu instid0(VALU_DEP_2)
	v_add_co_ci_u32_e64 v19, s0, s5, v19, s0
	global_load_b64 v[18:19], v[18:19], off
.LBB0_26:
	s_wait_alu 0xfffe
	s_or_b32 exec_lo, exec_lo, s1
	v_mov_b32_e32 v16, 0
	s_and_saveexec_b32 s0, vcc_lo
	s_cbranch_execz .LBB0_28
; %bb.27:
	v_add_nc_u32_e32 v4, 0xd2, v21
	s_delay_alu instid0(VALU_DEP_1) | instskip(SKIP_1) | instid1(VALU_DEP_2)
	v_mul_lo_u32 v16, s16, v4
	v_mov_b32_e32 v4, 0
	v_add3_u32 v3, s18, v3, v16
	s_delay_alu instid0(VALU_DEP_1) | instskip(NEXT) | instid1(VALU_DEP_1)
	v_lshlrev_b64_e32 v[3:4], 3, v[3:4]
	v_add_co_u32 v3, vcc_lo, s4, v3
	s_wait_alu 0xfffd
	s_delay_alu instid0(VALU_DEP_2)
	v_add_co_ci_u32_e32 v4, vcc_lo, s5, v4, vcc_lo
	global_load_b64 v[16:17], v[3:4], off
.LBB0_28:
	s_wait_alu 0xfffe
	s_or_b32 exec_lo, exec_lo, s0
	s_wait_loadcnt 0x0
	v_dual_sub_f32 v23, v5, v14 :: v_dual_sub_f32 v24, v6, v15
	v_dual_sub_f32 v26, v8, v19 :: v_dual_sub_f32 v19, v2, v12
	;; [unrolled: 1-line block ×3, first 2 shown]
	s_delay_alu instid0(VALU_DEP_2) | instskip(SKIP_3) | instid1(VALU_DEP_3)
	v_dual_sub_f32 v17, v10, v17 :: v_dual_add_f32 v14, v23, v26
	v_sub_f32_e32 v29, v9, v16
	s_mov_b32 s0, exec_lo
	v_lshlrev_b32_e32 v12, 6, v21
	v_dual_add_f32 v30, v27, v17 :: v_dual_sub_f32 v25, v24, v18
	s_delay_alu instid0(VALU_DEP_3) | instskip(SKIP_1) | instid1(VALU_DEP_3)
	v_sub_f32_e32 v28, v19, v29
	v_fma_f32 v15, v23, 2.0, -v14
	v_fma_f32 v11, v27, 2.0, -v30
	s_delay_alu instid0(VALU_DEP_4) | instskip(NEXT) | instid1(VALU_DEP_4)
	v_fma_f32 v16, v24, 2.0, -v25
	v_fma_f32 v31, v19, 2.0, -v28
	s_delay_alu instid0(VALU_DEP_3) | instskip(NEXT) | instid1(VALU_DEP_2)
	v_fmamk_f32 v3, v11, 0xbf3504f3, v15
	v_fmamk_f32 v4, v31, 0xbf3504f3, v16
	v_cmpx_lt_u32_e32 0xef, v0
	s_wait_alu 0xfffe
	s_xor_b32 s0, exec_lo, s0
; %bb.29:
	v_lshlrev_b32_e32 v12, 6, v21
                                        ; implicit-def: $vgpr6
                                        ; implicit-def: $vgpr2
                                        ; implicit-def: $vgpr8
                                        ; implicit-def: $vgpr10
                                        ; implicit-def: $vgpr23
                                        ; implicit-def: $vgpr24
                                        ; implicit-def: $vgpr18
                                        ; implicit-def: $vgpr26
                                        ; implicit-def: $vgpr27
                                        ; implicit-def: $vgpr19
                                        ; implicit-def: $vgpr29
                                        ; implicit-def: $vgpr17
                                        ; implicit-def: $vgpr14
                                        ; implicit-def: $vgpr25
                                        ; implicit-def: $vgpr15
                                        ; implicit-def: $vgpr16
                                        ; implicit-def: $vgpr30
                                        ; implicit-def: $vgpr28
; %bb.30:
	s_wait_alu 0xfffe
	s_or_saveexec_b32 s4, s0
	v_fmac_f32_e32 v3, 0x3f3504f3, v31
	v_dual_fmac_f32 v4, 0xbf3504f3, v11 :: v_dual_lshlrev_b32 v11, 3, v20
	s_add_nc_u64 s[0:1], s[28:29], s[14:15]
	s_wait_alu 0xfffe
	s_xor_b32 exec_lo, exec_lo, s4
	s_cbranch_execz .LBB0_32
; %bb.31:
	v_dual_fmamk_f32 v32, v28, 0x3f3504f3, v25 :: v_dual_fmamk_f32 v31, v30, 0x3f3504f3, v14
	v_fma_f32 v24, v6, 2.0, -v24
	v_fma_f32 v6, v8, 2.0, -v26
	;; [unrolled: 1-line block ×6, first 2 shown]
	v_dual_fmamk_f32 v32, v30, 0xbf3504f3, v32 :: v_dual_sub_f32 v17, v24, v6
	v_fma_f32 v5, v5, 2.0, -v23
	v_fma_f32 v7, v7, 2.0, -v18
	v_dual_sub_f32 v10, v9, v10 :: v_dual_fmac_f32 v31, 0x3f3504f3, v28
	s_delay_alu instid0(VALU_DEP_4) | instskip(SKIP_2) | instid1(VALU_DEP_4)
	v_fma_f32 v18, v24, 2.0, -v17
	v_fma_f32 v16, v16, 2.0, -v4
	;; [unrolled: 1-line block ×4, first 2 shown]
	v_sub_f32_e32 v7, v5, v7
	v_sub_f32_e32 v8, v1, v8
	v_fma_f32 v2, v25, 2.0, -v32
	s_delay_alu instid0(VALU_DEP_3) | instskip(SKIP_1) | instid1(VALU_DEP_4)
	v_fma_f32 v19, v5, 2.0, -v7
	v_add_f32_e32 v5, v7, v10
	v_fma_f32 v23, v1, 2.0, -v8
	v_sub_f32_e32 v6, v17, v8
	v_fma_f32 v1, v14, 2.0, -v31
	v_sub_f32_e32 v10, v18, v9
	s_delay_alu instid0(VALU_DEP_4) | instskip(NEXT) | instid1(VALU_DEP_4)
	v_dual_sub_f32 v9, v19, v23 :: v_dual_lshlrev_b32 v14, 9, v21
	v_fma_f32 v8, v17, 2.0, -v6
	v_fma_f32 v7, v7, 2.0, -v5
	s_delay_alu instid0(VALU_DEP_4) | instskip(NEXT) | instid1(VALU_DEP_4)
	v_fma_f32 v18, v18, 2.0, -v10
	v_add3_u32 v14, 0, v14, v11
	v_fma_f32 v17, v19, 2.0, -v9
	ds_store_2addr_b64 v14, v[17:18], v[15:16] offset1:8
	ds_store_2addr_b64 v14, v[7:8], v[1:2] offset0:16 offset1:24
	ds_store_2addr_b64 v14, v[9:10], v[3:4] offset0:32 offset1:40
	;; [unrolled: 1-line block ×3, first 2 shown]
.LBB0_32:
	s_or_b32 exec_lo, exec_lo, s4
	v_bfe_u32 v1, v0, 3, 3
	s_load_b64 s[4:5], s[0:1], 0x0
	global_wb scope:SCOPE_SE
	s_wait_dscnt 0x0
	s_wait_kmcnt 0x0
	s_barrier_signal -1
	s_barrier_wait -1
	v_lshlrev_b32_e32 v2, 5, v1
	global_inv scope:SCOPE_SE
	v_add3_u32 v14, 0, v12, v11
	v_cmp_gt_u32_e32 vcc_lo, 0x140, v0
	s_clause 0x1
	global_load_b128 v[15:18], v2, s[26:27]
	global_load_b128 v[23:26], v2, s[26:27] offset:16
	ds_load_2addr_stride64_b64 v[27:30], v14 offset0:6 offset1:12
	ds_load_2addr_stride64_b64 v[31:34], v14 offset0:18 offset1:24
	v_lshrrev_b32_e32 v2, 6, v0
	ds_load_2addr_b32 v[7:8], v14 offset1:1
	global_wb scope:SCOPE_SE
	s_wait_loadcnt_dscnt 0x0
	s_barrier_signal -1
	s_barrier_wait -1
	v_mul_u32_u24_e32 v2, 40, v2
	global_inv scope:SCOPE_SE
	v_or_b32_e32 v1, v2, v1
	s_delay_alu instid0(VALU_DEP_1) | instskip(NEXT) | instid1(VALU_DEP_1)
	v_dual_mul_f32 v2, v16, v27 :: v_dual_lshlrev_b32 v1, 6, v1
	v_add3_u32 v19, 0, v1, v11
	v_mul_f32_e32 v1, v16, v28
	v_dual_mul_f32 v5, v18, v30 :: v_dual_mul_f32 v10, v24, v31
	v_dual_mul_f32 v6, v18, v29 :: v_dual_mul_f32 v9, v24, v32
	s_delay_alu instid0(VALU_DEP_3) | instskip(SKIP_2) | instid1(VALU_DEP_4)
	v_dual_mul_f32 v16, v26, v34 :: v_dual_fmac_f32 v1, v15, v27
	v_fma_f32 v2, v15, v28, -v2
	v_mul_f32_e32 v11, v26, v33
	v_fma_f32 v6, v17, v30, -v6
	s_delay_alu instid0(VALU_DEP_4) | instskip(SKIP_3) | instid1(VALU_DEP_4)
	v_dual_fmac_f32 v9, v23, v31 :: v_dual_fmac_f32 v16, v25, v33
	v_fma_f32 v10, v23, v32, -v10
	v_dual_fmac_f32 v5, v17, v29 :: v_dual_add_f32 v28, v8, v2
	v_fma_f32 v15, v25, v34, -v11
	v_dual_add_f32 v11, v1, v7 :: v_dual_sub_f32 v24, v16, v9
	s_delay_alu instid0(VALU_DEP_4) | instskip(NEXT) | instid1(VALU_DEP_3)
	v_sub_f32_e32 v18, v6, v10
	v_dual_add_f32 v12, v5, v9 :: v_dual_sub_f32 v17, v2, v15
	v_dual_sub_f32 v23, v1, v5 :: v_dual_sub_f32 v32, v2, v6
	v_dual_add_f32 v25, v1, v16 :: v_dual_add_f32 v34, v2, v15
	v_dual_sub_f32 v26, v5, v1 :: v_dual_add_f32 v29, v6, v10
	v_dual_sub_f32 v27, v9, v16 :: v_dual_sub_f32 v36, v10, v15
	v_dual_sub_f32 v30, v1, v16 :: v_dual_sub_f32 v33, v15, v10
	v_sub_f32_e32 v31, v5, v9
	v_add_f32_e32 v5, v11, v5
	v_fma_f32 v1, -0.5, v12, v7
	v_add_f32_e32 v23, v23, v24
	v_fma_f32 v7, -0.5, v25, v7
	v_add_f32_e32 v24, v26, v27
	v_sub_f32_e32 v35, v6, v2
	v_add_f32_e32 v6, v28, v6
	v_fma_f32 v2, -0.5, v29, v8
	v_dual_fmac_f32 v8, -0.5, v34 :: v_dual_add_f32 v9, v5, v9
	v_fmamk_f32 v11, v17, 0xbf737871, v1
	s_delay_alu instid0(VALU_DEP_3)
	v_dual_fmac_f32 v1, 0x3f737871, v17 :: v_dual_fmamk_f32 v12, v30, 0x3f737871, v2
	v_fmamk_f32 v5, v18, 0x3f737871, v7
	v_add_f32_e32 v10, v6, v10
	v_fmac_f32_e32 v7, 0xbf737871, v18
	v_fmac_f32_e32 v2, 0xbf737871, v30
	v_fmamk_f32 v6, v31, 0xbf737871, v8
	v_fmac_f32_e32 v8, 0x3f737871, v31
	v_dual_add_f32 v10, v10, v15 :: v_dual_add_f32 v25, v32, v33
	v_add_f32_e32 v26, v35, v36
	v_dual_add_f32 v9, v9, v16 :: v_dual_fmac_f32 v12, 0x3f167918, v31
	v_dual_fmac_f32 v11, 0xbf167918, v18 :: v_dual_fmac_f32 v2, 0xbf167918, v31
	v_fmac_f32_e32 v1, 0x3f167918, v18
	v_dual_fmac_f32 v5, 0xbf167918, v17 :: v_dual_fmac_f32 v8, 0xbf167918, v30
	v_dual_fmac_f32 v7, 0x3f167918, v17 :: v_dual_fmac_f32 v6, 0x3f167918, v30
	s_delay_alu instid0(VALU_DEP_4) | instskip(NEXT) | instid1(VALU_DEP_4)
	v_dual_fmac_f32 v11, 0x3e9e377a, v23 :: v_dual_fmac_f32 v12, 0x3e9e377a, v25
	v_fmac_f32_e32 v1, 0x3e9e377a, v23
	s_delay_alu instid0(VALU_DEP_4) | instskip(NEXT) | instid1(VALU_DEP_4)
	v_dual_fmac_f32 v5, 0x3e9e377a, v24 :: v_dual_fmac_f32 v8, 0x3e9e377a, v26
	v_dual_fmac_f32 v7, 0x3e9e377a, v24 :: v_dual_fmac_f32 v2, 0x3e9e377a, v25
	v_fmac_f32_e32 v6, 0x3e9e377a, v26
	ds_store_2addr_stride64_b64 v19, v[9:10], v[11:12] offset1:1
	ds_store_2addr_stride64_b64 v19, v[5:6], v[7:8] offset0:2 offset1:3
	ds_store_b64 v19, v[1:2] offset:2048
	global_wb scope:SCOPE_SE
	s_wait_dscnt 0x0
	s_barrier_signal -1
	s_barrier_wait -1
	global_inv scope:SCOPE_SE
	s_and_saveexec_b32 s0, vcc_lo
	s_cbranch_execz .LBB0_34
; %bb.33:
	ds_load_2addr_stride64_b64 v[9:12], v14 offset1:5
	ds_load_2addr_stride64_b64 v[5:8], v14 offset0:10 offset1:15
	ds_load_2addr_stride64_b64 v[1:4], v14 offset0:20 offset1:25
.LBB0_34:
	s_wait_alu 0xfffe
	s_or_b32 exec_lo, exec_lo, s0
	v_cmp_gt_u32_e64 s0, 0x140, v0
	v_cmp_lt_u32_e32 vcc_lo, 0x13f, v0
	s_wait_alu 0xf1ff
	s_delay_alu instid0(VALU_DEP_2) | instskip(SKIP_3) | instid1(VALU_DEP_1)
	v_cndmask_b32_e64 v14, 0, 1, s0
	s_or_b32 vcc_lo, vcc_lo, s3
	s_mov_b32 s0, exec_lo
	s_wait_alu 0xfffe
	v_cndmask_b32_e32 v14, v22, v14, vcc_lo
	s_delay_alu instid0(VALU_DEP_1) | instskip(NEXT) | instid1(VALU_DEP_1)
	v_and_b32_e32 v14, 1, v14
	v_cmpx_eq_u32_e32 1, v14
	s_cbranch_execz .LBB0_36
; %bb.35:
	v_mul_lo_u16 v14, v21, 13
	v_mul_u32_u24_e32 v0, 0xcd, v0
	s_mul_i32 s0, s4, s24
	v_mov_b32_e32 v62, 0
	s_wait_alu 0xfffe
	s_add_co_i32 s0, s0, s2
	v_lshrrev_b16 v14, 9, v14
	v_lshrrev_b32_e32 v0, 16, v0
	s_delay_alu instid0(VALU_DEP_2) | instskip(NEXT) | instid1(VALU_DEP_2)
	v_mul_lo_u16 v14, v14, 40
	v_mul_lo_u16 v0, 0xf0, v0
	s_delay_alu instid0(VALU_DEP_2) | instskip(NEXT) | instid1(VALU_DEP_1)
	v_sub_nc_u16 v14, v21, v14
	v_and_b32_e32 v61, 0xff, v14
	s_delay_alu instid0(VALU_DEP_1) | instskip(SKIP_2) | instid1(VALU_DEP_3)
	v_mul_u32_u24_e32 v14, 5, v61
	v_add_nc_u32_e32 v15, 0xc8, v61
	v_mul_lo_u32 v49, v13, v61
	v_lshlrev_b32_e32 v25, 3, v14
	s_delay_alu instid0(VALU_DEP_3)
	v_mul_lo_u32 v51, v13, v15
	s_clause 0x1
	global_load_b128 v[14:17], v25, s[26:27] offset:256
	global_load_b128 v[21:24], v25, s[26:27] offset:272
	v_add_nc_u32_e32 v18, 0xa0, v61
	v_add_nc_u32_e32 v19, 0x78, v61
	;; [unrolled: 1-line block ×3, first 2 shown]
	v_lshrrev_b32_e32 v30, 5, v51
	s_delay_alu instid0(VALU_DEP_4) | instskip(NEXT) | instid1(VALU_DEP_4)
	v_mul_lo_u32 v52, v13, v18
	v_mul_lo_u32 v53, v13, v19
	global_load_b64 v[18:19], v25, s[26:27] offset:288
	v_add_nc_u32_e32 v26, 0x50, v61
	v_and_b32_e32 v25, 0xff, v49
	v_and_b32_e32 v39, 0x7f8, v30
	;; [unrolled: 1-line block ×3, first 2 shown]
	s_delay_alu instid0(VALU_DEP_3) | instskip(SKIP_4) | instid1(VALU_DEP_4)
	v_lshlrev_b32_e32 v25, 3, v25
	v_lshrrev_b32_e32 v34, 5, v53
	v_lshrrev_b32_e32 v32, 5, v52
	;; [unrolled: 1-line block ×3, first 2 shown]
	v_lshlrev_b32_e32 v40, 3, v31
	v_and_b32_e32 v43, 0x7f8, v34
	s_wait_loadcnt_dscnt 0x202
	s_delay_alu instid0(VALU_DEP_3) | instskip(SKIP_3) | instid1(VALU_DEP_3)
	v_dual_mul_f32 v74, v12, v15 :: v_dual_and_b32 v55, 0x7f8, v52
	v_and_b32_e32 v29, 0xff, v51
	v_lshrrev_b32_e32 v51, 13, v51
	v_mul_f32_e32 v15, v11, v15
	v_dual_fmac_f32 v74, v11, v14 :: v_dual_lshlrev_b32 v29, 3, v29
	v_and_b32_e32 v41, 0x7f8, v32
	s_wait_loadcnt_dscnt 0x0
	v_mul_f32_e32 v73, v3, v19
	v_mul_lo_u32 v54, v13, v26
	v_lshrrev_b32_e32 v26, 5, v49
	v_mul_lo_u32 v13, v13, v27
	v_mul_f32_e32 v19, v4, v19
	v_lshrrev_b32_e32 v49, 13, v49
	v_fma_f32 v4, v4, v18, -v73
	v_and_b32_e32 v27, 0x7f8, v26
	s_clause 0x1
	global_load_b64 v[25:26], v25, s[12:13]
	global_load_b64 v[27:28], v27, s[12:13] offset:2048
	v_and_b32_e32 v33, 0xff, v53
	v_lshrrev_b32_e32 v53, 13, v53
	v_lshrrev_b32_e32 v36, 5, v54
	v_lshrrev_b32_e32 v38, 5, v13
	s_delay_alu instid0(VALU_DEP_4)
	v_dual_fmac_f32 v19, v3, v18 :: v_dual_lshlrev_b32 v42, 3, v33
	v_and_b32_e32 v35, 0xff, v54
	v_and_b32_e32 v37, 0xff, v13
	;; [unrolled: 1-line block ×5, first 2 shown]
	v_lshlrev_b32_e32 v44, 3, v35
	v_lshlrev_b32_e32 v46, 3, v37
	s_clause 0x9
	global_load_b64 v[29:30], v29, s[12:13]
	global_load_b64 v[31:32], v39, s[12:13] offset:2048
	global_load_b64 v[33:34], v40, s[12:13]
	global_load_b64 v[35:36], v41, s[12:13] offset:2048
	;; [unrolled: 2-line block ×5, first 2 shown]
	v_and_b32_e32 v49, 0x7f8, v49
	v_lshrrev_b32_e32 v54, 13, v54
	v_lshrrev_b32_e32 v13, 13, v13
	v_and_b32_e32 v51, 0x7f8, v51
	v_fma_f32 v3, v12, v14, -v15
	global_load_b64 v[49:50], v49, s[12:13] offset:4096
	v_and_b32_e32 v57, 0x7f8, v54
	v_and_b32_e32 v13, 0x7f8, v13
	s_clause 0x4
	global_load_b64 v[51:52], v51, s[12:13] offset:4096
	global_load_b64 v[53:54], v55, s[12:13] offset:4096
	;; [unrolled: 1-line block ×5, first 2 shown]
	v_and_b32_e32 v0, 0xffff, v0
	v_mul_lo_u32 v13, s10, v20
	s_delay_alu instid0(VALU_DEP_2) | instskip(NEXT) | instid1(VALU_DEP_1)
	v_add_nc_u32_e32 v0, v0, v61
	v_mul_lo_u32 v20, s8, v0
	v_add_nc_u32_e32 v61, 40, v0
	v_add_nc_u32_e32 v63, 0x50, v0
	v_add_nc_u32_e32 v66, 0xa0, v0
	s_delay_alu instid0(VALU_DEP_3) | instskip(NEXT) | instid1(VALU_DEP_3)
	v_mul_lo_u32 v65, s8, v61
	v_mul_lo_u32 v67, s8, v63
	s_wait_alu 0xfffe
	v_add3_u32 v61, v13, v20, s0
	v_add_nc_u32_e32 v20, 0x78, v0
	v_mul_lo_u32 v71, s8, v66
	v_add_nc_u32_e32 v0, 0xc8, v0
	s_delay_alu instid0(VALU_DEP_4) | instskip(SKIP_2) | instid1(VALU_DEP_4)
	v_lshlrev_b64_e32 v[63:64], 3, v[61:62]
	v_add3_u32 v61, v13, v65, s0
	v_mul_lo_u32 v20, s8, v20
	v_mul_lo_u32 v0, s8, v0
	s_delay_alu instid0(VALU_DEP_3) | instskip(SKIP_4) | instid1(VALU_DEP_3)
	v_lshlrev_b64_e32 v[65:66], 3, v[61:62]
	v_add3_u32 v61, v13, v67, s0
	v_add_co_u32 v63, vcc_lo, s6, v63
	s_wait_alu 0xfffd
	v_add_co_ci_u32_e32 v64, vcc_lo, s7, v64, vcc_lo
	v_lshlrev_b64_e32 v[67:68], 3, v[61:62]
	v_add3_u32 v61, v13, v20, s0
	v_mul_f32_e32 v20, v2, v24
	v_add_co_u32 v65, vcc_lo, s6, v65
	s_wait_alu 0xfffd
	v_add_co_ci_u32_e32 v66, vcc_lo, s7, v66, vcc_lo
	v_lshlrev_b64_e32 v[69:70], 3, v[61:62]
	v_add3_u32 v61, v13, v71, s0
	v_fmac_f32_e32 v20, v1, v23
	v_add_co_u32 v67, vcc_lo, s6, v67
	s_wait_alu 0xfffd
	v_add_co_ci_u32_e32 v68, vcc_lo, s7, v68, vcc_lo
	v_lshlrev_b64_e32 v[71:72], 3, v[61:62]
	v_add3_u32 v61, v13, v0, s0
	v_mul_f32_e32 v0, v5, v17
	v_mul_f32_e32 v17, v6, v17
	v_dual_mul_f32 v13, v1, v24 :: v_dual_mul_f32 v24, v7, v22
	v_mul_f32_e32 v22, v8, v22
	s_delay_alu instid0(VALU_DEP_4) | instskip(NEXT) | instid1(VALU_DEP_4)
	v_fma_f32 v0, v6, v16, -v0
	v_fmac_f32_e32 v17, v5, v16
	s_delay_alu instid0(VALU_DEP_4) | instskip(SKIP_3) | instid1(VALU_DEP_4)
	v_fma_f32 v2, v2, v23, -v13
	v_fma_f32 v1, v8, v21, -v24
	v_fmac_f32_e32 v22, v7, v21
	v_add_co_u32 v69, vcc_lo, s6, v69
	v_dual_add_f32 v16, v17, v20 :: v_dual_add_f32 v7, v0, v2
	v_sub_f32_e32 v8, v17, v20
	s_delay_alu instid0(VALU_DEP_4)
	v_dual_add_f32 v17, v9, v17 :: v_dual_add_f32 v12, v22, v19
	v_dual_sub_f32 v14, v22, v19 :: v_dual_sub_f32 v15, v0, v2
	v_add_f32_e32 v18, v74, v22
	v_fma_f32 v9, -0.5, v16, v9
	v_add_f32_e32 v0, v10, v0
	v_fma_f32 v7, -0.5, v7, v10
	v_fma_f32 v10, -0.5, v12, v74
	v_lshlrev_b64_e32 v[61:62], 3, v[61:62]
	s_wait_alu 0xfffd
	v_add_co_ci_u32_e32 v70, vcc_lo, s7, v70, vcc_lo
	v_add_f32_e32 v0, v0, v2
	v_add_co_u32 v71, vcc_lo, s6, v71
	s_wait_alu 0xfffd
	v_add_co_ci_u32_e32 v72, vcc_lo, s7, v72, vcc_lo
	v_add_co_u32 v61, vcc_lo, s6, v61
	s_wait_alu 0xfffd
	v_add_co_ci_u32_e32 v62, vcc_lo, s7, v62, vcc_lo
	s_wait_loadcnt 0x10
	v_mul_f32_e32 v5, v26, v28
	v_mul_f32_e32 v6, v25, v28
	s_delay_alu instid0(VALU_DEP_2)
	v_fma_f32 v5, v25, v27, -v5
	s_wait_loadcnt 0xe
	v_mul_f32_e32 v21, v30, v32
	v_mul_f32_e32 v22, v29, v32
	s_wait_loadcnt 0xc
	v_mul_f32_e32 v24, v33, v36
	v_sub_f32_e32 v11, v1, v4
	s_wait_loadcnt 0xa
	v_mul_f32_e32 v32, v37, v40
	v_add_f32_e32 v13, v1, v4
	v_dual_add_f32 v1, v3, v1 :: v_dual_mul_f32 v28, v38, v40
	s_wait_loadcnt 0x8
	v_mul_f32_e32 v40, v41, v44
	v_fmac_f32_e32 v32, v38, v39
	v_fmac_f32_e32 v6, v27, v26
	v_fma_f32 v3, -0.5, v13, v3
	v_fmac_f32_e32 v24, v34, v35
	v_mul_f32_e32 v23, v34, v36
	v_mul_f32_e32 v36, v42, v44
	s_wait_loadcnt 0x6
	v_mul_f32_e32 v44, v46, v48
	v_mul_f32_e32 v48, v45, v48
	v_dual_add_f32 v1, v1, v4 :: v_dual_fmac_f32 v40, v42, v43
	v_add_f32_e32 v2, v17, v20
	v_add_f32_e32 v4, v18, v19
	v_fmac_f32_e32 v22, v30, v31
	v_fma_f32 v13, v33, v35, -v23
	v_fmamk_f32 v23, v11, 0x3f5db3d7, v10
	v_fma_f32 v16, v37, v39, -v28
	v_fma_f32 v17, v41, v43, -v36
	s_wait_loadcnt 0x5
	v_mul_f32_e32 v19, v50, v6
	v_fmac_f32_e32 v48, v46, v47
	v_mul_f32_e32 v20, v50, v5
	v_fmamk_f32 v25, v14, 0xbf5db3d7, v3
	v_fmamk_f32 v26, v15, 0x3f5db3d7, v9
	v_fma_f32 v12, v29, v31, -v21
	v_fmac_f32_e32 v3, 0x3f5db3d7, v14
	v_fmamk_f32 v21, v8, 0xbf5db3d7, v7
	v_fma_f32 v18, v45, v47, -v44
	v_dual_fmac_f32 v7, 0x3f5db3d7, v8 :: v_dual_sub_f32 v8, v0, v1
	v_fmac_f32_e32 v10, 0xbf5db3d7, v11
	v_fmac_f32_e32 v9, 0xbf5db3d7, v15
	v_sub_f32_e32 v11, v2, v4
	s_wait_loadcnt 0x4
	v_dual_add_f32 v1, v0, v1 :: v_dual_mul_f32 v0, v22, v52
	v_add_f32_e32 v4, v2, v4
	s_wait_loadcnt 0x3
	v_dual_mul_f32 v14, v12, v52 :: v_dual_mul_f32 v15, v13, v54
	s_wait_loadcnt 0x1
	v_dual_mul_f32 v27, v32, v56 :: v_dual_mul_f32 v30, v17, v58
	v_mul_f32_e32 v28, v16, v56
	v_mul_f32_e32 v29, v40, v58
	s_wait_loadcnt 0x0
	v_dual_mul_f32 v31, v48, v60 :: v_dual_fmac_f32 v20, v49, v6
	v_fma_f32 v5, v49, v5, -v19
	v_mul_f32_e32 v6, -0.5, v25
	v_mul_f32_e32 v19, 0xbf5db3d7, v25
	v_dual_mul_f32 v25, 0.5, v3 :: v_dual_fmac_f32 v28, v55, v32
	v_dual_mul_f32 v3, 0xbf5db3d7, v3 :: v_dual_fmac_f32 v30, v57, v40
	v_dual_mul_f32 v2, v24, v54 :: v_dual_mul_f32 v33, v18, v60
	v_fmac_f32_e32 v14, v51, v22
	v_fma_f32 v12, v51, v12, -v0
	v_dual_fmac_f32 v15, v53, v24 :: v_dual_fmac_f32 v6, 0x3f5db3d7, v23
	v_dual_mul_f32 v22, v4, v20 :: v_dual_fmac_f32 v19, -0.5, v23
	v_dual_mul_f32 v0, v1, v20 :: v_dual_fmac_f32 v25, 0x3f5db3d7, v10
	v_dual_fmac_f32 v3, 0.5, v10 :: v_dual_mul_f32 v10, v11, v28
	v_fma_f32 v13, v53, v13, -v2
	v_fma_f32 v16, v55, v16, -v27
	s_delay_alu instid0(VALU_DEP_4)
	v_dual_fmac_f32 v33, v59, v48 :: v_dual_fmac_f32 v0, v4, v5
	v_mul_f32_e32 v2, v8, v28
	v_fma_f32 v1, v1, v5, -v22
	v_dual_sub_f32 v5, v21, v6 :: v_dual_sub_f32 v20, v26, v19
	v_dual_add_f32 v21, v21, v6 :: v_dual_sub_f32 v22, v7, v25
	v_sub_f32_e32 v23, v9, v3
	v_dual_add_f32 v7, v7, v25 :: v_dual_add_f32 v24, v9, v3
	v_dual_add_f32 v19, v26, v19 :: v_dual_fmac_f32 v2, v11, v16
	v_fma_f32 v17, v57, v17, -v29
	v_fma_f32 v18, v59, v18, -v31
	;; [unrolled: 1-line block ×3, first 2 shown]
	v_mul_f32_e32 v6, v33, v7
	v_mul_f32_e32 v8, v21, v30
	v_dual_mul_f32 v11, v33, v24 :: v_dual_mul_f32 v4, v22, v15
	v_mul_f32_e32 v9, v19, v30
	global_store_b64 v[63:64], v[0:1], off
	v_dual_mul_f32 v1, v20, v14 :: v_dual_mul_f32 v10, v23, v15
	v_mul_f32_e32 v0, v5, v14
	v_fmac_f32_e32 v6, v18, v24
	v_fmac_f32_e32 v8, v19, v17
	v_fma_f32 v7, v18, v7, -v11
	v_fma_f32 v9, v21, v17, -v9
	;; [unrolled: 1-line block ×4, first 2 shown]
	v_fmac_f32_e32 v4, v23, v13
	v_fmac_f32_e32 v0, v20, v12
	s_clause 0x4
	global_store_b64 v[65:66], v[6:7], off
	global_store_b64 v[67:68], v[8:9], off
	;; [unrolled: 1-line block ×5, first 2 shown]
.LBB0_36:
	s_nop 0
	s_sendmsg sendmsg(MSG_DEALLOC_VGPRS)
	s_endpgm
	.section	.rodata,"a",@progbits
	.p2align	6, 0x0
	.amdhsa_kernel fft_rtc_back_len240_factors_8_5_6_wgs_384_tpt_48_sp_op_CI_CI_sbcc_twdbase8_3step_dirReg_intrinsicReadWrite
		.amdhsa_group_segment_fixed_size 0
		.amdhsa_private_segment_fixed_size 0
		.amdhsa_kernarg_size 112
		.amdhsa_user_sgpr_count 2
		.amdhsa_user_sgpr_dispatch_ptr 0
		.amdhsa_user_sgpr_queue_ptr 0
		.amdhsa_user_sgpr_kernarg_segment_ptr 1
		.amdhsa_user_sgpr_dispatch_id 0
		.amdhsa_user_sgpr_private_segment_size 0
		.amdhsa_wavefront_size32 1
		.amdhsa_uses_dynamic_stack 0
		.amdhsa_enable_private_segment 0
		.amdhsa_system_sgpr_workgroup_id_x 1
		.amdhsa_system_sgpr_workgroup_id_y 0
		.amdhsa_system_sgpr_workgroup_id_z 0
		.amdhsa_system_sgpr_workgroup_info 0
		.amdhsa_system_vgpr_workitem_id 0
		.amdhsa_next_free_vgpr 75
		.amdhsa_next_free_sgpr 62
		.amdhsa_reserve_vcc 1
		.amdhsa_float_round_mode_32 0
		.amdhsa_float_round_mode_16_64 0
		.amdhsa_float_denorm_mode_32 3
		.amdhsa_float_denorm_mode_16_64 3
		.amdhsa_fp16_overflow 0
		.amdhsa_workgroup_processor_mode 1
		.amdhsa_memory_ordered 1
		.amdhsa_forward_progress 0
		.amdhsa_round_robin_scheduling 0
		.amdhsa_exception_fp_ieee_invalid_op 0
		.amdhsa_exception_fp_denorm_src 0
		.amdhsa_exception_fp_ieee_div_zero 0
		.amdhsa_exception_fp_ieee_overflow 0
		.amdhsa_exception_fp_ieee_underflow 0
		.amdhsa_exception_fp_ieee_inexact 0
		.amdhsa_exception_int_div_zero 0
	.end_amdhsa_kernel
	.text
.Lfunc_end0:
	.size	fft_rtc_back_len240_factors_8_5_6_wgs_384_tpt_48_sp_op_CI_CI_sbcc_twdbase8_3step_dirReg_intrinsicReadWrite, .Lfunc_end0-fft_rtc_back_len240_factors_8_5_6_wgs_384_tpt_48_sp_op_CI_CI_sbcc_twdbase8_3step_dirReg_intrinsicReadWrite
                                        ; -- End function
	.section	.AMDGPU.csdata,"",@progbits
; Kernel info:
; codeLenInByte = 5304
; NumSgprs: 64
; NumVgprs: 75
; ScratchSize: 0
; MemoryBound: 0
; FloatMode: 240
; IeeeMode: 1
; LDSByteSize: 0 bytes/workgroup (compile time only)
; SGPRBlocks: 7
; VGPRBlocks: 9
; NumSGPRsForWavesPerEU: 64
; NumVGPRsForWavesPerEU: 75
; Occupancy: 15
; WaveLimiterHint : 1
; COMPUTE_PGM_RSRC2:SCRATCH_EN: 0
; COMPUTE_PGM_RSRC2:USER_SGPR: 2
; COMPUTE_PGM_RSRC2:TRAP_HANDLER: 0
; COMPUTE_PGM_RSRC2:TGID_X_EN: 1
; COMPUTE_PGM_RSRC2:TGID_Y_EN: 0
; COMPUTE_PGM_RSRC2:TGID_Z_EN: 0
; COMPUTE_PGM_RSRC2:TIDIG_COMP_CNT: 0
	.text
	.p2alignl 7, 3214868480
	.fill 96, 4, 3214868480
	.type	__hip_cuid_7ef9f38c4c63976d,@object ; @__hip_cuid_7ef9f38c4c63976d
	.section	.bss,"aw",@nobits
	.globl	__hip_cuid_7ef9f38c4c63976d
__hip_cuid_7ef9f38c4c63976d:
	.byte	0                               ; 0x0
	.size	__hip_cuid_7ef9f38c4c63976d, 1

	.ident	"AMD clang version 19.0.0git (https://github.com/RadeonOpenCompute/llvm-project roc-6.4.0 25133 c7fe45cf4b819c5991fe208aaa96edf142730f1d)"
	.section	".note.GNU-stack","",@progbits
	.addrsig
	.addrsig_sym __hip_cuid_7ef9f38c4c63976d
	.amdgpu_metadata
---
amdhsa.kernels:
  - .args:
      - .actual_access:  read_only
        .address_space:  global
        .offset:         0
        .size:           8
        .value_kind:     global_buffer
      - .address_space:  global
        .offset:         8
        .size:           8
        .value_kind:     global_buffer
      - .offset:         16
        .size:           8
        .value_kind:     by_value
      - .actual_access:  read_only
        .address_space:  global
        .offset:         24
        .size:           8
        .value_kind:     global_buffer
      - .actual_access:  read_only
        .address_space:  global
        .offset:         32
        .size:           8
        .value_kind:     global_buffer
      - .actual_access:  read_only
        .address_space:  global
        .offset:         40
        .size:           8
        .value_kind:     global_buffer
      - .offset:         48
        .size:           8
        .value_kind:     by_value
      - .actual_access:  read_only
        .address_space:  global
        .offset:         56
        .size:           8
        .value_kind:     global_buffer
      - .actual_access:  read_only
        .address_space:  global
        .offset:         64
        .size:           8
        .value_kind:     global_buffer
      - .offset:         72
        .size:           4
        .value_kind:     by_value
      - .actual_access:  read_only
        .address_space:  global
        .offset:         80
        .size:           8
        .value_kind:     global_buffer
      - .actual_access:  read_only
        .address_space:  global
        .offset:         88
        .size:           8
        .value_kind:     global_buffer
      - .actual_access:  read_only
        .address_space:  global
        .offset:         96
        .size:           8
        .value_kind:     global_buffer
      - .actual_access:  write_only
        .address_space:  global
        .offset:         104
        .size:           8
        .value_kind:     global_buffer
    .group_segment_fixed_size: 0
    .kernarg_segment_align: 8
    .kernarg_segment_size: 112
    .language:       OpenCL C
    .language_version:
      - 2
      - 0
    .max_flat_workgroup_size: 384
    .name:           fft_rtc_back_len240_factors_8_5_6_wgs_384_tpt_48_sp_op_CI_CI_sbcc_twdbase8_3step_dirReg_intrinsicReadWrite
    .private_segment_fixed_size: 0
    .sgpr_count:     64
    .sgpr_spill_count: 0
    .symbol:         fft_rtc_back_len240_factors_8_5_6_wgs_384_tpt_48_sp_op_CI_CI_sbcc_twdbase8_3step_dirReg_intrinsicReadWrite.kd
    .uniform_work_group_size: 1
    .uses_dynamic_stack: false
    .vgpr_count:     75
    .vgpr_spill_count: 0
    .wavefront_size: 32
    .workgroup_processor_mode: 1
amdhsa.target:   amdgcn-amd-amdhsa--gfx1201
amdhsa.version:
  - 1
  - 2
...

	.end_amdgpu_metadata
